;; amdgpu-corpus repo=zjin-lcf/HeCBench kind=compiled arch=gfx950 opt=O3
	.amdgcn_target "amdgcn-amd-amdhsa--gfx950"
	.amdhsa_code_object_version 6
	.text
	.protected	_Z24calNumEigenValueIntervalPjPKfS1_S1_j ; -- Begin function _Z24calNumEigenValueIntervalPjPKfS1_S1_j
	.globl	_Z24calNumEigenValueIntervalPjPKfS1_S1_j
	.p2align	8
	.type	_Z24calNumEigenValueIntervalPjPKfS1_S1_j,@function
_Z24calNumEigenValueIntervalPjPKfS1_S1_j: ; @_Z24calNumEigenValueIntervalPjPKfS1_S1_j
; %bb.0:
	s_load_dword s3, s[0:1], 0x34
	s_load_dwordx8 s[4:11], s[0:1], 0x0
	v_mov_b32_e32 v3, 0
	s_waitcnt lgkmcnt(0)
	s_and_b32 s3, s3, 0xffff
	s_mul_i32 s2, s2, s3
	v_add_u32_e32 v0, s2, v0
	v_lshlrev_b32_e32 v2, 1, v0
	v_lshl_add_u64 v[2:3], v[2:3], 2, s[6:7]
	global_load_dwordx2 v[2:3], v[2:3], off
	s_load_dword s12, s[0:1], 0x20
	s_load_dword s13, s[8:9], 0x0
	s_waitcnt lgkmcnt(0)
	s_cmp_gt_u32 s12, 1
	s_cselect_b64 s[0:1], -1, 0
	s_cmp_lt_u32 s12, 2
	s_waitcnt vmcnt(0)
	v_sub_f32_e32 v4, s13, v2
	v_cmp_gt_f32_e32 vcc, 0, v4
	s_nop 1
	v_cndmask_b32_e64 v1, 0, 1, vcc
	s_cbranch_scc1 .LBB0_3
; %bb.1:
	s_add_i32 s14, s12, -1
	s_add_u32 s2, s8, 4
	s_addc_u32 s3, s9, 0
	s_mov_b64 s[6:7], s[10:11]
.LBB0_2:                                ; =>This Inner Loop Header: Depth=1
	s_load_dword s15, s[2:3], 0x0
	s_load_dword s16, s[6:7], 0x0
	s_add_i32 s14, s14, -1
	s_add_u32 s6, s6, 4
	s_addc_u32 s7, s7, 0
	s_waitcnt lgkmcnt(0)
	v_sub_f32_e32 v5, s15, v2
	v_mul_f32_e64 v6, s16, s16
	v_div_scale_f32 v7, s[16:17], v4, v4, v6
	v_rcp_f32_e32 v9, v7
	v_div_scale_f32 v8, vcc, v6, v4, v6
	s_add_u32 s2, s2, 4
	v_fma_f32 v10, -v7, v9, 1.0
	v_fmac_f32_e32 v9, v10, v9
	v_mul_f32_e32 v10, v8, v9
	v_fma_f32 v11, -v7, v10, v8
	v_fmac_f32_e32 v10, v11, v9
	v_fma_f32 v7, -v7, v10, v8
	v_div_fmas_f32 v7, v7, v9, v10
	v_div_fixup_f32 v4, v7, v4, v6
	v_sub_f32_e32 v4, v5, v4
	s_addc_u32 s3, s3, 0
	v_cmp_gt_f32_e32 vcc, 0, v4
	s_cmp_lg_u32 s14, 0
	s_nop 0
	v_addc_co_u32_e32 v1, vcc, 0, v1, vcc
	s_cbranch_scc1 .LBB0_2
.LBB0_3:
	v_sub_f32_e32 v4, s13, v3
	s_andn2_b64 vcc, exec, s[0:1]
	v_cmp_gt_f32_e64 s[0:1], 0, v4
	s_nop 1
	v_cndmask_b32_e64 v2, 0, 1, s[0:1]
	s_cbranch_vccnz .LBB0_6
; %bb.4:
	s_add_i32 s2, s12, -1
	s_add_u32 s0, s8, 4
	s_addc_u32 s1, s9, 0
.LBB0_5:                                ; =>This Inner Loop Header: Depth=1
	s_load_dword s3, s[0:1], 0x0
	s_load_dword s6, s[10:11], 0x0
	s_add_i32 s2, s2, -1
	s_add_u32 s10, s10, 4
	s_addc_u32 s11, s11, 0
	s_waitcnt lgkmcnt(0)
	v_sub_f32_e32 v5, s3, v3
	v_mul_f32_e64 v6, s6, s6
	v_div_scale_f32 v7, s[6:7], v4, v4, v6
	v_rcp_f32_e32 v9, v7
	v_div_scale_f32 v8, vcc, v6, v4, v6
	s_add_u32 s0, s0, 4
	v_fma_f32 v10, -v7, v9, 1.0
	v_fmac_f32_e32 v9, v10, v9
	v_mul_f32_e32 v10, v8, v9
	v_fma_f32 v11, -v7, v10, v8
	v_fmac_f32_e32 v10, v11, v9
	v_fma_f32 v7, -v7, v10, v8
	v_div_fmas_f32 v7, v7, v9, v10
	v_div_fixup_f32 v4, v7, v4, v6
	v_sub_f32_e32 v4, v5, v4
	s_addc_u32 s1, s1, 0
	v_cmp_gt_f32_e32 vcc, 0, v4
	s_cmp_lg_u32 s2, 0
	s_nop 0
	v_addc_co_u32_e32 v2, vcc, 0, v2, vcc
	s_cbranch_scc1 .LBB0_5
.LBB0_6:
	v_cvt_f32_u32_e32 v1, v1
	v_cvt_f32_u32_e32 v2, v2
	v_cvt_u32_f32_e32 v3, v1
	v_cvt_u32_f32_e32 v2, v2
	v_mov_b32_e32 v1, 0
	v_lshl_add_u64 v[0:1], v[0:1], 2, s[4:5]
	v_sub_u32_e32 v2, v2, v3
	global_store_dword v[0:1], v2, off
	s_endpgm
	.section	.rodata,"a",@progbits
	.p2align	6, 0x0
	.amdhsa_kernel _Z24calNumEigenValueIntervalPjPKfS1_S1_j
		.amdhsa_group_segment_fixed_size 0
		.amdhsa_private_segment_fixed_size 0
		.amdhsa_kernarg_size 296
		.amdhsa_user_sgpr_count 2
		.amdhsa_user_sgpr_dispatch_ptr 0
		.amdhsa_user_sgpr_queue_ptr 0
		.amdhsa_user_sgpr_kernarg_segment_ptr 1
		.amdhsa_user_sgpr_dispatch_id 0
		.amdhsa_user_sgpr_kernarg_preload_length 0
		.amdhsa_user_sgpr_kernarg_preload_offset 0
		.amdhsa_user_sgpr_private_segment_size 0
		.amdhsa_uses_dynamic_stack 0
		.amdhsa_enable_private_segment 0
		.amdhsa_system_sgpr_workgroup_id_x 1
		.amdhsa_system_sgpr_workgroup_id_y 0
		.amdhsa_system_sgpr_workgroup_id_z 0
		.amdhsa_system_sgpr_workgroup_info 0
		.amdhsa_system_vgpr_workitem_id 0
		.amdhsa_next_free_vgpr 12
		.amdhsa_next_free_sgpr 18
		.amdhsa_accum_offset 12
		.amdhsa_reserve_vcc 1
		.amdhsa_float_round_mode_32 0
		.amdhsa_float_round_mode_16_64 0
		.amdhsa_float_denorm_mode_32 3
		.amdhsa_float_denorm_mode_16_64 3
		.amdhsa_dx10_clamp 1
		.amdhsa_ieee_mode 1
		.amdhsa_fp16_overflow 0
		.amdhsa_tg_split 0
		.amdhsa_exception_fp_ieee_invalid_op 0
		.amdhsa_exception_fp_denorm_src 0
		.amdhsa_exception_fp_ieee_div_zero 0
		.amdhsa_exception_fp_ieee_overflow 0
		.amdhsa_exception_fp_ieee_underflow 0
		.amdhsa_exception_fp_ieee_inexact 0
		.amdhsa_exception_int_div_zero 0
	.end_amdhsa_kernel
	.text
.Lfunc_end0:
	.size	_Z24calNumEigenValueIntervalPjPKfS1_S1_j, .Lfunc_end0-_Z24calNumEigenValueIntervalPjPKfS1_S1_j
                                        ; -- End function
	.set _Z24calNumEigenValueIntervalPjPKfS1_S1_j.num_vgpr, 12
	.set _Z24calNumEigenValueIntervalPjPKfS1_S1_j.num_agpr, 0
	.set _Z24calNumEigenValueIntervalPjPKfS1_S1_j.numbered_sgpr, 18
	.set _Z24calNumEigenValueIntervalPjPKfS1_S1_j.num_named_barrier, 0
	.set _Z24calNumEigenValueIntervalPjPKfS1_S1_j.private_seg_size, 0
	.set _Z24calNumEigenValueIntervalPjPKfS1_S1_j.uses_vcc, 1
	.set _Z24calNumEigenValueIntervalPjPKfS1_S1_j.uses_flat_scratch, 0
	.set _Z24calNumEigenValueIntervalPjPKfS1_S1_j.has_dyn_sized_stack, 0
	.set _Z24calNumEigenValueIntervalPjPKfS1_S1_j.has_recursion, 0
	.set _Z24calNumEigenValueIntervalPjPKfS1_S1_j.has_indirect_call, 0
	.section	.AMDGPU.csdata,"",@progbits
; Kernel info:
; codeLenInByte = 520
; TotalNumSgprs: 24
; NumVgprs: 12
; NumAgprs: 0
; TotalNumVgprs: 12
; ScratchSize: 0
; MemoryBound: 0
; FloatMode: 240
; IeeeMode: 1
; LDSByteSize: 0 bytes/workgroup (compile time only)
; SGPRBlocks: 2
; VGPRBlocks: 1
; NumSGPRsForWavesPerEU: 24
; NumVGPRsForWavesPerEU: 12
; AccumOffset: 12
; Occupancy: 8
; WaveLimiterHint : 0
; COMPUTE_PGM_RSRC2:SCRATCH_EN: 0
; COMPUTE_PGM_RSRC2:USER_SGPR: 2
; COMPUTE_PGM_RSRC2:TRAP_HANDLER: 0
; COMPUTE_PGM_RSRC2:TGID_X_EN: 1
; COMPUTE_PGM_RSRC2:TGID_Y_EN: 0
; COMPUTE_PGM_RSRC2:TGID_Z_EN: 0
; COMPUTE_PGM_RSRC2:TIDIG_COMP_CNT: 0
; COMPUTE_PGM_RSRC3_GFX90A:ACCUM_OFFSET: 2
; COMPUTE_PGM_RSRC3_GFX90A:TG_SPLIT: 0
	.text
	.protected	_Z25recalculateEigenIntervalsPfPKfPKjS1_S1_jf ; -- Begin function _Z25recalculateEigenIntervalsPfPKfPKjS1_S1_jf
	.globl	_Z25recalculateEigenIntervalsPfPKfPKjS1_S1_jf
	.p2align	8
	.type	_Z25recalculateEigenIntervalsPfPKfPKjS1_S1_jf,@function
_Z25recalculateEigenIntervalsPfPKfPKjS1_S1_jf: ; @_Z25recalculateEigenIntervalsPfPKfPKjS1_S1_jf
; %bb.0:
	s_load_dwordx8 s[4:11], s[0:1], 0x0
	s_load_dword s3, s[0:1], 0x3c
	s_load_dwordx2 s[12:13], s[0:1], 0x20
	v_mov_b64_e32 v[2:3], 0
	s_waitcnt lgkmcnt(0)
	s_load_dword s18, s[8:9], 0x0
	s_and_b32 s3, s3, 0xffff
	s_mul_i32 s2, s2, s3
	v_add_u32_e32 v5, s2, v0
	v_mov_b32_e32 v4, v5
	s_waitcnt lgkmcnt(0)
	v_cmp_le_u32_e32 vcc, s18, v5
	v_mov_b32_e32 v6, s18
	s_and_saveexec_b64 s[2:3], vcc
	s_cbranch_execz .LBB1_4
; %bb.1:
	s_mov_b32 s17, 0
	s_mov_b64 s[14:15], 0
	v_mov_b32_e32 v4, v5
	s_mov_b32 s16, s17
.LBB1_2:                                ; =>This Inner Loop Header: Depth=1
	s_add_i32 s16, s16, 1
	v_subrev_u32_e32 v4, s18, v4
	s_lshl_b64 s[18:19], s[16:17], 2
	s_add_u32 s18, s8, s18
	s_addc_u32 s19, s9, s19
	s_load_dword s18, s[18:19], 0x0
	v_mov_b32_e32 v0, s16
	s_waitcnt lgkmcnt(0)
	v_cmp_gt_u32_e32 vcc, s18, v4
	s_or_b64 s[14:15], vcc, s[14:15]
	v_mov_b32_e32 v6, s18
	s_andn2_b64 exec, exec, s[14:15]
	s_cbranch_execnz .LBB1_2
; %bb.3:
	s_or_b64 exec, exec, s[14:15]
	v_lshlrev_b32_e32 v2, 1, v0
	v_mov_b32_e32 v3, 0
.LBB1_4:
	s_or_b64 exec, exec, s[2:3]
	v_lshl_add_u64 v[0:1], v[2:3], 2, s[6:7]
	global_load_dwordx2 v[0:1], v[0:1], off
	v_lshlrev_b32_e32 v2, 1, v5
	v_cmp_ne_u32_e32 vcc, 1, v6
	s_waitcnt vmcnt(0)
	v_sub_f32_e32 v5, v1, v0
	s_and_saveexec_b64 s[2:3], vcc
	s_xor_b64 s[2:3], exec, s[2:3]
	s_cbranch_execz .LBB1_6
; %bb.5:
	v_cvt_f32_u32_e32 v1, v6
	v_cvt_f32_u32_e32 v4, v4
	v_mov_b32_e32 v3, 0
	v_lshl_add_u64 v[2:3], v[2:3], 2, s[4:5]
	v_div_scale_f32 v6, s[6:7], v1, v1, v5
	v_rcp_f32_e32 v7, v6
	v_div_scale_f32 v8, vcc, v5, v1, v5
	v_fma_f32 v9, -v6, v7, 1.0
	v_fmac_f32_e32 v7, v9, v7
	v_mul_f32_e32 v9, v8, v7
	v_fma_f32 v10, -v6, v9, v8
	v_fmac_f32_e32 v9, v10, v7
	v_fma_f32 v6, -v6, v9, v8
	v_div_fmas_f32 v6, v6, v7, v9
	v_div_fixup_f32 v1, v6, v1, v5
	v_fmac_f32_e32 v0, v1, v4
	v_add_f32_e32 v1, v1, v0
	global_store_dwordx2 v[2:3], v[0:1], off
                                        ; implicit-def: $vgpr2
                                        ; implicit-def: $vgpr0_vgpr1
                                        ; implicit-def: $vgpr5
.LBB1_6:
	s_andn2_saveexec_b64 s[2:3], s[2:3]
	s_cbranch_execz .LBB1_21
; %bb.7:
	s_load_dword s14, s[10:11], 0x0
	s_load_dwordx2 s[2:3], s[0:1], 0x28
	v_add_f32_e32 v3, v1, v0
	v_mul_f32_e32 v4, 0.5, v3
	s_waitcnt lgkmcnt(0)
	v_fma_f32 v6, v3, -0.5, s14
	s_cmp_gt_u32 s2, 1
	v_cmp_gt_f32_e32 vcc, 0, v6
	s_cselect_b64 s[0:1], -1, 0
	s_cmp_lt_u32 s2, 2
	v_cndmask_b32_e64 v3, 0, 1, vcc
	s_cbranch_scc1 .LBB1_10
; %bb.8:
	s_add_i32 s15, s2, -1
	s_add_u32 s6, s10, 4
	s_addc_u32 s7, s11, 0
	s_mov_b64 s[8:9], s[12:13]
.LBB1_9:                                ; =>This Inner Loop Header: Depth=1
	s_load_dword s16, s[6:7], 0x0
	s_load_dword s17, s[8:9], 0x0
	s_add_i32 s15, s15, -1
	s_add_u32 s8, s8, 4
	s_addc_u32 s9, s9, 0
	s_waitcnt lgkmcnt(0)
	v_sub_f32_e32 v7, s16, v4
	v_mul_f32_e64 v8, s17, s17
	v_div_scale_f32 v9, s[16:17], v6, v6, v8
	v_rcp_f32_e32 v11, v9
	v_div_scale_f32 v10, vcc, v8, v6, v8
	s_add_u32 s6, s6, 4
	v_fma_f32 v12, -v9, v11, 1.0
	v_fmac_f32_e32 v11, v12, v11
	v_mul_f32_e32 v12, v10, v11
	v_fma_f32 v13, -v9, v12, v10
	v_fmac_f32_e32 v12, v13, v11
	v_fma_f32 v9, -v9, v12, v10
	v_div_fmas_f32 v9, v9, v11, v12
	v_div_fixup_f32 v6, v9, v6, v8
	v_sub_f32_e32 v6, v7, v6
	s_addc_u32 s7, s7, 0
	v_cmp_gt_f32_e32 vcc, 0, v6
	s_cmp_lg_u32 s15, 0
	s_nop 0
	v_addc_co_u32_e32 v3, vcc, 0, v3, vcc
	s_cbranch_scc1 .LBB1_9
.LBB1_10:
	v_sub_f32_e32 v7, s14, v0
	s_andn2_b64 vcc, exec, s[0:1]
	v_cmp_gt_f32_e64 s[0:1], 0, v7
	s_nop 1
	v_cndmask_b32_e64 v6, 0, 1, s[0:1]
	s_cbranch_vccnz .LBB1_13
; %bb.11:
	s_add_i32 s2, s2, -1
	s_add_u32 s0, s10, 4
	s_addc_u32 s1, s11, 0
.LBB1_12:                               ; =>This Inner Loop Header: Depth=1
	s_load_dword s6, s[0:1], 0x0
	s_load_dword s7, s[12:13], 0x0
	s_add_i32 s2, s2, -1
	s_add_u32 s12, s12, 4
	s_addc_u32 s13, s13, 0
	s_waitcnt lgkmcnt(0)
	v_sub_f32_e32 v8, s6, v0
	v_mul_f32_e64 v9, s7, s7
	v_div_scale_f32 v10, s[6:7], v7, v7, v9
	v_rcp_f32_e32 v12, v10
	v_div_scale_f32 v11, vcc, v9, v7, v9
	s_add_u32 s0, s0, 4
	v_fma_f32 v13, -v10, v12, 1.0
	v_fmac_f32_e32 v12, v13, v12
	v_mul_f32_e32 v13, v11, v12
	v_fma_f32 v14, -v10, v13, v11
	v_fmac_f32_e32 v13, v14, v12
	v_fma_f32 v10, -v10, v13, v11
	v_div_fmas_f32 v10, v10, v12, v13
	v_div_fixup_f32 v7, v10, v7, v9
	v_sub_f32_e32 v7, v8, v7
	s_addc_u32 s1, s1, 0
	v_cmp_gt_f32_e32 vcc, 0, v7
	s_cmp_lg_u32 s2, 0
	s_nop 0
	v_addc_co_u32_e32 v6, vcc, 0, v6, vcc
	s_cbranch_scc1 .LBB1_12
.LBB1_13:
	v_cmp_ngt_f32_e32 vcc, s3, v5
	s_and_saveexec_b64 s[0:1], vcc
	s_xor_b64 s[0:1], exec, s[0:1]
	s_cbranch_execz .LBB1_19
; %bb.14:
	v_cvt_f32_u32_e32 v5, v3
	v_cvt_f32_u32_e32 v6, v6
	v_mov_b32_e32 v3, 0
	v_lshl_add_u64 v[2:3], v[2:3], 2, s[4:5]
	v_cmp_neq_f32_e32 vcc, v5, v6
	s_and_saveexec_b64 s[2:3], vcc
	s_xor_b64 s[2:3], exec, s[2:3]
	s_cbranch_execz .LBB1_16
; %bb.15:
	v_mov_b32_e32 v1, v4
	global_store_dwordx2 v[2:3], v[0:1], off
                                        ; implicit-def: $vgpr4
                                        ; implicit-def: $vgpr0_vgpr1
                                        ; implicit-def: $vgpr2_vgpr3
.LBB1_16:
	s_andn2_saveexec_b64 s[2:3], s[2:3]
	s_cbranch_execz .LBB1_18
; %bb.17:
	v_mov_b32_e32 v5, v1
	global_store_dwordx2 v[2:3], v[4:5], off
.LBB1_18:
	s_or_b64 exec, exec, s[2:3]
                                        ; implicit-def: $vgpr2
                                        ; implicit-def: $vgpr0_vgpr1
.LBB1_19:
	s_andn2_saveexec_b64 s[0:1], s[0:1]
	s_cbranch_execz .LBB1_21
; %bb.20:
	v_mov_b32_e32 v3, 0
	v_lshl_add_u64 v[2:3], v[2:3], 2, s[4:5]
	global_store_dwordx2 v[2:3], v[0:1], off
.LBB1_21:
	s_endpgm
	.section	.rodata,"a",@progbits
	.p2align	6, 0x0
	.amdhsa_kernel _Z25recalculateEigenIntervalsPfPKfPKjS1_S1_jf
		.amdhsa_group_segment_fixed_size 0
		.amdhsa_private_segment_fixed_size 0
		.amdhsa_kernarg_size 304
		.amdhsa_user_sgpr_count 2
		.amdhsa_user_sgpr_dispatch_ptr 0
		.amdhsa_user_sgpr_queue_ptr 0
		.amdhsa_user_sgpr_kernarg_segment_ptr 1
		.amdhsa_user_sgpr_dispatch_id 0
		.amdhsa_user_sgpr_kernarg_preload_length 0
		.amdhsa_user_sgpr_kernarg_preload_offset 0
		.amdhsa_user_sgpr_private_segment_size 0
		.amdhsa_uses_dynamic_stack 0
		.amdhsa_enable_private_segment 0
		.amdhsa_system_sgpr_workgroup_id_x 1
		.amdhsa_system_sgpr_workgroup_id_y 0
		.amdhsa_system_sgpr_workgroup_id_z 0
		.amdhsa_system_sgpr_workgroup_info 0
		.amdhsa_system_vgpr_workitem_id 0
		.amdhsa_next_free_vgpr 15
		.amdhsa_next_free_sgpr 20
		.amdhsa_accum_offset 16
		.amdhsa_reserve_vcc 1
		.amdhsa_float_round_mode_32 0
		.amdhsa_float_round_mode_16_64 0
		.amdhsa_float_denorm_mode_32 3
		.amdhsa_float_denorm_mode_16_64 3
		.amdhsa_dx10_clamp 1
		.amdhsa_ieee_mode 1
		.amdhsa_fp16_overflow 0
		.amdhsa_tg_split 0
		.amdhsa_exception_fp_ieee_invalid_op 0
		.amdhsa_exception_fp_denorm_src 0
		.amdhsa_exception_fp_ieee_div_zero 0
		.amdhsa_exception_fp_ieee_overflow 0
		.amdhsa_exception_fp_ieee_underflow 0
		.amdhsa_exception_fp_ieee_inexact 0
		.amdhsa_exception_int_div_zero 0
	.end_amdhsa_kernel
	.text
.Lfunc_end1:
	.size	_Z25recalculateEigenIntervalsPfPKfPKjS1_S1_jf, .Lfunc_end1-_Z25recalculateEigenIntervalsPfPKfPKjS1_S1_jf
                                        ; -- End function
	.set _Z25recalculateEigenIntervalsPfPKfPKjS1_S1_jf.num_vgpr, 15
	.set _Z25recalculateEigenIntervalsPfPKfPKjS1_S1_jf.num_agpr, 0
	.set _Z25recalculateEigenIntervalsPfPKfPKjS1_S1_jf.numbered_sgpr, 20
	.set _Z25recalculateEigenIntervalsPfPKfPKjS1_S1_jf.num_named_barrier, 0
	.set _Z25recalculateEigenIntervalsPfPKfPKjS1_S1_jf.private_seg_size, 0
	.set _Z25recalculateEigenIntervalsPfPKfPKjS1_S1_jf.uses_vcc, 1
	.set _Z25recalculateEigenIntervalsPfPKfPKjS1_S1_jf.uses_flat_scratch, 0
	.set _Z25recalculateEigenIntervalsPfPKfPKjS1_S1_jf.has_dyn_sized_stack, 0
	.set _Z25recalculateEigenIntervalsPfPKfPKjS1_S1_jf.has_recursion, 0
	.set _Z25recalculateEigenIntervalsPfPKfPKjS1_S1_jf.has_indirect_call, 0
	.section	.AMDGPU.csdata,"",@progbits
; Kernel info:
; codeLenInByte = 868
; TotalNumSgprs: 26
; NumVgprs: 15
; NumAgprs: 0
; TotalNumVgprs: 15
; ScratchSize: 0
; MemoryBound: 0
; FloatMode: 240
; IeeeMode: 1
; LDSByteSize: 0 bytes/workgroup (compile time only)
; SGPRBlocks: 3
; VGPRBlocks: 1
; NumSGPRsForWavesPerEU: 26
; NumVGPRsForWavesPerEU: 15
; AccumOffset: 16
; Occupancy: 8
; WaveLimiterHint : 0
; COMPUTE_PGM_RSRC2:SCRATCH_EN: 0
; COMPUTE_PGM_RSRC2:USER_SGPR: 2
; COMPUTE_PGM_RSRC2:TRAP_HANDLER: 0
; COMPUTE_PGM_RSRC2:TGID_X_EN: 1
; COMPUTE_PGM_RSRC2:TGID_Y_EN: 0
; COMPUTE_PGM_RSRC2:TGID_Z_EN: 0
; COMPUTE_PGM_RSRC2:TIDIG_COMP_CNT: 0
; COMPUTE_PGM_RSRC3_GFX90A:ACCUM_OFFSET: 3
; COMPUTE_PGM_RSRC3_GFX90A:TG_SPLIT: 0
	.text
	.p2alignl 6, 3212836864
	.fill 256, 4, 3212836864
	.section	.AMDGPU.gpr_maximums,"",@progbits
	.set amdgpu.max_num_vgpr, 0
	.set amdgpu.max_num_agpr, 0
	.set amdgpu.max_num_sgpr, 0
	.text
	.type	__hip_cuid_33b9fc8c8304a9ef,@object ; @__hip_cuid_33b9fc8c8304a9ef
	.section	.bss,"aw",@nobits
	.globl	__hip_cuid_33b9fc8c8304a9ef
__hip_cuid_33b9fc8c8304a9ef:
	.byte	0                               ; 0x0
	.size	__hip_cuid_33b9fc8c8304a9ef, 1

	.ident	"AMD clang version 22.0.0git (https://github.com/RadeonOpenCompute/llvm-project roc-7.2.4 26084 f58b06dce1f9c15707c5f808fd002e18c2accf7e)"
	.section	".note.GNU-stack","",@progbits
	.addrsig
	.addrsig_sym __hip_cuid_33b9fc8c8304a9ef
	.amdgpu_metadata
---
amdhsa.kernels:
  - .agpr_count:     0
    .args:
      - .actual_access:  write_only
        .address_space:  global
        .offset:         0
        .size:           8
        .value_kind:     global_buffer
      - .actual_access:  read_only
        .address_space:  global
        .offset:         8
        .size:           8
        .value_kind:     global_buffer
      - .actual_access:  read_only
        .address_space:  global
        .offset:         16
        .size:           8
        .value_kind:     global_buffer
      - .actual_access:  read_only
        .address_space:  global
        .offset:         24
        .size:           8
        .value_kind:     global_buffer
      - .offset:         32
        .size:           4
        .value_kind:     by_value
      - .offset:         40
        .size:           4
        .value_kind:     hidden_block_count_x
      - .offset:         44
        .size:           4
        .value_kind:     hidden_block_count_y
      - .offset:         48
        .size:           4
        .value_kind:     hidden_block_count_z
      - .offset:         52
        .size:           2
        .value_kind:     hidden_group_size_x
      - .offset:         54
        .size:           2
        .value_kind:     hidden_group_size_y
      - .offset:         56
        .size:           2
        .value_kind:     hidden_group_size_z
      - .offset:         58
        .size:           2
        .value_kind:     hidden_remainder_x
      - .offset:         60
        .size:           2
        .value_kind:     hidden_remainder_y
      - .offset:         62
        .size:           2
        .value_kind:     hidden_remainder_z
      - .offset:         80
        .size:           8
        .value_kind:     hidden_global_offset_x
      - .offset:         88
        .size:           8
        .value_kind:     hidden_global_offset_y
      - .offset:         96
        .size:           8
        .value_kind:     hidden_global_offset_z
      - .offset:         104
        .size:           2
        .value_kind:     hidden_grid_dims
    .group_segment_fixed_size: 0
    .kernarg_segment_align: 8
    .kernarg_segment_size: 296
    .language:       OpenCL C
    .language_version:
      - 2
      - 0
    .max_flat_workgroup_size: 1024
    .name:           _Z24calNumEigenValueIntervalPjPKfS1_S1_j
    .private_segment_fixed_size: 0
    .sgpr_count:     24
    .sgpr_spill_count: 0
    .symbol:         _Z24calNumEigenValueIntervalPjPKfS1_S1_j.kd
    .uniform_work_group_size: 1
    .uses_dynamic_stack: false
    .vgpr_count:     12
    .vgpr_spill_count: 0
    .wavefront_size: 64
  - .agpr_count:     0
    .args:
      - .actual_access:  write_only
        .address_space:  global
        .offset:         0
        .size:           8
        .value_kind:     global_buffer
      - .actual_access:  read_only
        .address_space:  global
        .offset:         8
        .size:           8
        .value_kind:     global_buffer
      - .actual_access:  read_only
        .address_space:  global
        .offset:         16
        .size:           8
        .value_kind:     global_buffer
      - .actual_access:  read_only
        .address_space:  global
        .offset:         24
        .size:           8
        .value_kind:     global_buffer
      - .actual_access:  read_only
        .address_space:  global
        .offset:         32
        .size:           8
        .value_kind:     global_buffer
      - .offset:         40
        .size:           4
        .value_kind:     by_value
      - .offset:         44
        .size:           4
        .value_kind:     by_value
      - .offset:         48
        .size:           4
        .value_kind:     hidden_block_count_x
      - .offset:         52
        .size:           4
        .value_kind:     hidden_block_count_y
      - .offset:         56
        .size:           4
        .value_kind:     hidden_block_count_z
      - .offset:         60
        .size:           2
        .value_kind:     hidden_group_size_x
      - .offset:         62
        .size:           2
        .value_kind:     hidden_group_size_y
      - .offset:         64
        .size:           2
        .value_kind:     hidden_group_size_z
      - .offset:         66
        .size:           2
        .value_kind:     hidden_remainder_x
      - .offset:         68
        .size:           2
        .value_kind:     hidden_remainder_y
      - .offset:         70
        .size:           2
        .value_kind:     hidden_remainder_z
      - .offset:         88
        .size:           8
        .value_kind:     hidden_global_offset_x
      - .offset:         96
        .size:           8
        .value_kind:     hidden_global_offset_y
      - .offset:         104
        .size:           8
        .value_kind:     hidden_global_offset_z
      - .offset:         112
        .size:           2
        .value_kind:     hidden_grid_dims
    .group_segment_fixed_size: 0
    .kernarg_segment_align: 8
    .kernarg_segment_size: 304
    .language:       OpenCL C
    .language_version:
      - 2
      - 0
    .max_flat_workgroup_size: 1024
    .name:           _Z25recalculateEigenIntervalsPfPKfPKjS1_S1_jf
    .private_segment_fixed_size: 0
    .sgpr_count:     26
    .sgpr_spill_count: 0
    .symbol:         _Z25recalculateEigenIntervalsPfPKfPKjS1_S1_jf.kd
    .uniform_work_group_size: 1
    .uses_dynamic_stack: false
    .vgpr_count:     15
    .vgpr_spill_count: 0
    .wavefront_size: 64
amdhsa.target:   amdgcn-amd-amdhsa--gfx950
amdhsa.version:
  - 1
  - 2
...

	.end_amdgpu_metadata
